;; amdgpu-corpus repo=ROCm/rocFFT kind=compiled arch=gfx906 opt=O3
	.text
	.amdgcn_target "amdgcn-amd-amdhsa--gfx906"
	.amdhsa_code_object_version 6
	.protected	fft_rtc_back_len98_factors_2_7_7_wgs_252_tpt_14_dp_ip_CI_unitstride_sbrr_C2R_dirReg ; -- Begin function fft_rtc_back_len98_factors_2_7_7_wgs_252_tpt_14_dp_ip_CI_unitstride_sbrr_C2R_dirReg
	.globl	fft_rtc_back_len98_factors_2_7_7_wgs_252_tpt_14_dp_ip_CI_unitstride_sbrr_C2R_dirReg
	.p2align	8
	.type	fft_rtc_back_len98_factors_2_7_7_wgs_252_tpt_14_dp_ip_CI_unitstride_sbrr_C2R_dirReg,@function
fft_rtc_back_len98_factors_2_7_7_wgs_252_tpt_14_dp_ip_CI_unitstride_sbrr_C2R_dirReg: ; @fft_rtc_back_len98_factors_2_7_7_wgs_252_tpt_14_dp_ip_CI_unitstride_sbrr_C2R_dirReg
; %bb.0:
	s_load_dwordx2 s[2:3], s[4:5], 0x50
	s_load_dwordx4 s[8:11], s[4:5], 0x0
	s_load_dwordx2 s[12:13], s[4:5], 0x18
	v_mul_u32_u24_e32 v1, 0x124a, v0
	v_lshrrev_b32_e32 v1, 16, v1
	v_mad_u64_u32 v[1:2], s[0:1], s6, 18, v[1:2]
	v_mov_b32_e32 v5, 0
	s_waitcnt lgkmcnt(0)
	v_cmp_lt_u64_e64 s[0:1], s[10:11], 2
	v_mov_b32_e32 v2, v5
	v_mov_b32_e32 v3, 0
	;; [unrolled: 1-line block ×3, first 2 shown]
	s_and_b64 vcc, exec, s[0:1]
	v_mov_b32_e32 v4, 0
	v_mov_b32_e32 v9, v1
	s_cbranch_vccnz .LBB0_8
; %bb.1:
	s_load_dwordx2 s[0:1], s[4:5], 0x10
	s_add_u32 s6, s12, 8
	s_addc_u32 s7, s13, 0
	v_mov_b32_e32 v3, 0
	v_mov_b32_e32 v8, v2
	s_waitcnt lgkmcnt(0)
	s_add_u32 s16, s0, 8
	s_mov_b64 s[14:15], 1
	v_mov_b32_e32 v4, 0
	s_addc_u32 s17, s1, 0
	v_mov_b32_e32 v7, v1
.LBB0_2:                                ; =>This Inner Loop Header: Depth=1
	s_load_dwordx2 s[18:19], s[16:17], 0x0
                                        ; implicit-def: $vgpr9_vgpr10
	s_waitcnt lgkmcnt(0)
	v_or_b32_e32 v6, s19, v8
	v_cmp_ne_u64_e32 vcc, 0, v[5:6]
	s_and_saveexec_b64 s[0:1], vcc
	s_xor_b64 s[20:21], exec, s[0:1]
	s_cbranch_execz .LBB0_4
; %bb.3:                                ;   in Loop: Header=BB0_2 Depth=1
	v_cvt_f32_u32_e32 v2, s18
	v_cvt_f32_u32_e32 v6, s19
	s_sub_u32 s0, 0, s18
	s_subb_u32 s1, 0, s19
	v_mac_f32_e32 v2, 0x4f800000, v6
	v_rcp_f32_e32 v2, v2
	v_mul_f32_e32 v2, 0x5f7ffffc, v2
	v_mul_f32_e32 v6, 0x2f800000, v2
	v_trunc_f32_e32 v6, v6
	v_mac_f32_e32 v2, 0xcf800000, v6
	v_cvt_u32_f32_e32 v6, v6
	v_cvt_u32_f32_e32 v2, v2
	v_mul_lo_u32 v9, s0, v6
	v_mul_hi_u32 v10, s0, v2
	v_mul_lo_u32 v12, s1, v2
	v_mul_lo_u32 v11, s0, v2
	v_add_u32_e32 v9, v10, v9
	v_add_u32_e32 v9, v9, v12
	v_mul_hi_u32 v10, v2, v11
	v_mul_lo_u32 v12, v2, v9
	v_mul_hi_u32 v14, v2, v9
	v_mul_hi_u32 v13, v6, v11
	v_mul_lo_u32 v11, v6, v11
	v_mul_hi_u32 v15, v6, v9
	v_add_co_u32_e32 v10, vcc, v10, v12
	v_addc_co_u32_e32 v12, vcc, 0, v14, vcc
	v_mul_lo_u32 v9, v6, v9
	v_add_co_u32_e32 v10, vcc, v10, v11
	v_addc_co_u32_e32 v10, vcc, v12, v13, vcc
	v_addc_co_u32_e32 v11, vcc, 0, v15, vcc
	v_add_co_u32_e32 v9, vcc, v10, v9
	v_addc_co_u32_e32 v10, vcc, 0, v11, vcc
	v_add_co_u32_e32 v2, vcc, v2, v9
	v_addc_co_u32_e32 v6, vcc, v6, v10, vcc
	v_mul_lo_u32 v9, s0, v6
	v_mul_hi_u32 v10, s0, v2
	v_mul_lo_u32 v11, s1, v2
	v_mul_lo_u32 v12, s0, v2
	v_add_u32_e32 v9, v10, v9
	v_add_u32_e32 v9, v9, v11
	v_mul_lo_u32 v13, v2, v9
	v_mul_hi_u32 v14, v2, v12
	v_mul_hi_u32 v15, v2, v9
	;; [unrolled: 1-line block ×3, first 2 shown]
	v_mul_lo_u32 v12, v6, v12
	v_mul_hi_u32 v10, v6, v9
	v_add_co_u32_e32 v13, vcc, v14, v13
	v_addc_co_u32_e32 v14, vcc, 0, v15, vcc
	v_mul_lo_u32 v9, v6, v9
	v_add_co_u32_e32 v12, vcc, v13, v12
	v_addc_co_u32_e32 v11, vcc, v14, v11, vcc
	v_addc_co_u32_e32 v10, vcc, 0, v10, vcc
	v_add_co_u32_e32 v9, vcc, v11, v9
	v_addc_co_u32_e32 v10, vcc, 0, v10, vcc
	v_add_co_u32_e32 v2, vcc, v2, v9
	v_addc_co_u32_e32 v6, vcc, v6, v10, vcc
	v_mad_u64_u32 v[9:10], s[0:1], v7, v6, 0
	v_mul_hi_u32 v11, v7, v2
	v_add_co_u32_e32 v13, vcc, v11, v9
	v_addc_co_u32_e32 v14, vcc, 0, v10, vcc
	v_mad_u64_u32 v[9:10], s[0:1], v8, v2, 0
	v_mad_u64_u32 v[11:12], s[0:1], v8, v6, 0
	v_add_co_u32_e32 v2, vcc, v13, v9
	v_addc_co_u32_e32 v2, vcc, v14, v10, vcc
	v_addc_co_u32_e32 v6, vcc, 0, v12, vcc
	v_add_co_u32_e32 v2, vcc, v2, v11
	v_addc_co_u32_e32 v6, vcc, 0, v6, vcc
	v_mul_lo_u32 v11, s19, v2
	v_mul_lo_u32 v12, s18, v6
	v_mad_u64_u32 v[9:10], s[0:1], s18, v2, 0
	v_add3_u32 v10, v10, v12, v11
	v_sub_u32_e32 v11, v8, v10
	v_mov_b32_e32 v12, s19
	v_sub_co_u32_e32 v9, vcc, v7, v9
	v_subb_co_u32_e64 v11, s[0:1], v11, v12, vcc
	v_subrev_co_u32_e64 v12, s[0:1], s18, v9
	v_subbrev_co_u32_e64 v11, s[0:1], 0, v11, s[0:1]
	v_cmp_le_u32_e64 s[0:1], s19, v11
	v_cndmask_b32_e64 v13, 0, -1, s[0:1]
	v_cmp_le_u32_e64 s[0:1], s18, v12
	v_cndmask_b32_e64 v12, 0, -1, s[0:1]
	v_cmp_eq_u32_e64 s[0:1], s19, v11
	v_cndmask_b32_e64 v11, v13, v12, s[0:1]
	v_add_co_u32_e64 v12, s[0:1], 2, v2
	v_addc_co_u32_e64 v13, s[0:1], 0, v6, s[0:1]
	v_add_co_u32_e64 v14, s[0:1], 1, v2
	v_addc_co_u32_e64 v15, s[0:1], 0, v6, s[0:1]
	v_subb_co_u32_e32 v10, vcc, v8, v10, vcc
	v_cmp_ne_u32_e64 s[0:1], 0, v11
	v_cmp_le_u32_e32 vcc, s19, v10
	v_cndmask_b32_e64 v11, v15, v13, s[0:1]
	v_cndmask_b32_e64 v13, 0, -1, vcc
	v_cmp_le_u32_e32 vcc, s18, v9
	v_cndmask_b32_e64 v9, 0, -1, vcc
	v_cmp_eq_u32_e32 vcc, s19, v10
	v_cndmask_b32_e32 v9, v13, v9, vcc
	v_cmp_ne_u32_e32 vcc, 0, v9
	v_cndmask_b32_e32 v10, v6, v11, vcc
	v_cndmask_b32_e64 v6, v14, v12, s[0:1]
	v_cndmask_b32_e32 v9, v2, v6, vcc
.LBB0_4:                                ;   in Loop: Header=BB0_2 Depth=1
	s_andn2_saveexec_b64 s[0:1], s[20:21]
	s_cbranch_execz .LBB0_6
; %bb.5:                                ;   in Loop: Header=BB0_2 Depth=1
	v_cvt_f32_u32_e32 v2, s18
	s_sub_i32 s20, 0, s18
	v_rcp_iflag_f32_e32 v2, v2
	v_mul_f32_e32 v2, 0x4f7ffffe, v2
	v_cvt_u32_f32_e32 v2, v2
	v_mul_lo_u32 v6, s20, v2
	v_mul_hi_u32 v6, v2, v6
	v_add_u32_e32 v2, v2, v6
	v_mul_hi_u32 v2, v7, v2
	v_mul_lo_u32 v6, v2, s18
	v_add_u32_e32 v9, 1, v2
	v_sub_u32_e32 v6, v7, v6
	v_subrev_u32_e32 v10, s18, v6
	v_cmp_le_u32_e32 vcc, s18, v6
	v_cndmask_b32_e32 v6, v6, v10, vcc
	v_cndmask_b32_e32 v2, v2, v9, vcc
	v_add_u32_e32 v9, 1, v2
	v_cmp_le_u32_e32 vcc, s18, v6
	v_cndmask_b32_e32 v9, v2, v9, vcc
	v_mov_b32_e32 v10, v5
.LBB0_6:                                ;   in Loop: Header=BB0_2 Depth=1
	s_or_b64 exec, exec, s[0:1]
	v_mul_lo_u32 v2, v10, s18
	v_mul_lo_u32 v6, v9, s19
	v_mad_u64_u32 v[11:12], s[0:1], v9, s18, 0
	s_load_dwordx2 s[0:1], s[6:7], 0x0
	s_add_u32 s14, s14, 1
	v_add3_u32 v2, v12, v6, v2
	v_sub_co_u32_e32 v6, vcc, v7, v11
	v_subb_co_u32_e32 v2, vcc, v8, v2, vcc
	s_waitcnt lgkmcnt(0)
	v_mul_lo_u32 v2, s0, v2
	v_mul_lo_u32 v7, s1, v6
	v_mad_u64_u32 v[3:4], s[0:1], s0, v6, v[3:4]
	s_addc_u32 s15, s15, 0
	s_add_u32 s6, s6, 8
	v_add3_u32 v4, v7, v4, v2
	v_mov_b32_e32 v6, s10
	v_mov_b32_e32 v7, s11
	s_addc_u32 s7, s7, 0
	v_cmp_ge_u64_e32 vcc, s[14:15], v[6:7]
	s_add_u32 s16, s16, 8
	s_addc_u32 s17, s17, 0
	s_cbranch_vccnz .LBB0_8
; %bb.7:                                ;   in Loop: Header=BB0_2 Depth=1
	v_mov_b32_e32 v7, v9
	v_mov_b32_e32 v8, v10
	s_branch .LBB0_2
.LBB0_8:
	s_lshl_b64 s[0:1], s[10:11], 3
	s_add_u32 s0, s12, s0
	s_addc_u32 s1, s13, s1
	s_load_dwordx2 s[0:1], s[0:1], 0x0
	s_mov_b32 s6, 0x38e38e39
	v_mul_hi_u32 v2, v1, s6
	s_waitcnt lgkmcnt(0)
	v_mul_lo_u32 v5, s0, v10
	v_mul_lo_u32 v6, s1, v9
	v_mad_u64_u32 v[3:4], s[0:1], s0, v9, v[3:4]
	v_lshrrev_b32_e32 v2, 2, v2
	s_load_dwordx2 s[0:1], s[4:5], 0x20
	v_mul_lo_u32 v2, v2, 18
	s_mov_b32 s4, 0x12492493
	v_add3_u32 v4, v6, v4, v5
	v_mul_hi_u32 v5, v0, s4
	v_sub_u32_e32 v1, v1, v2
	v_mul_u32_u24_e32 v2, 0x63, v1
	s_waitcnt lgkmcnt(0)
	v_cmp_gt_u64_e32 vcc, s[0:1], v[9:10]
	v_mul_u32_u24_e32 v1, 14, v5
	v_lshlrev_b64 v[10:11], 4, v[3:4]
	v_sub_u32_e32 v8, v0, v1
	v_lshlrev_b32_e32 v16, 4, v2
	s_and_saveexec_b64 s[4:5], vcc
	s_cbranch_execz .LBB0_12
; %bb.9:
	v_mov_b32_e32 v9, 0
	v_mov_b32_e32 v1, s3
	v_add_co_u32_e64 v0, s[0:1], s2, v10
	v_lshlrev_b64 v[3:4], 4, v[8:9]
	v_addc_co_u32_e64 v1, s[0:1], v1, v11, s[0:1]
	v_add_co_u32_e64 v37, s[0:1], v0, v3
	v_addc_co_u32_e64 v38, s[0:1], v1, v4, s[0:1]
	global_load_dwordx4 v[4:7], v[37:38], off
	global_load_dwordx4 v[12:15], v[37:38], off offset:224
	global_load_dwordx4 v[17:20], v[37:38], off offset:448
	;; [unrolled: 1-line block ×6, first 2 shown]
	v_lshlrev_b32_e32 v3, 4, v8
	v_add3_u32 v3, 0, v16, v3
	v_cmp_eq_u32_e64 s[0:1], 13, v8
	s_waitcnt vmcnt(6)
	ds_write_b128 v3, v[4:7]
	s_waitcnt vmcnt(5)
	ds_write_b128 v3, v[12:15] offset:224
	s_waitcnt vmcnt(4)
	ds_write_b128 v3, v[17:20] offset:448
	;; [unrolled: 2-line block ×6, first 2 shown]
	s_and_saveexec_b64 s[6:7], s[0:1]
	s_cbranch_execz .LBB0_11
; %bb.10:
	global_load_dwordx4 v[4:7], v[0:1], off offset:1568
	v_mov_b32_e32 v8, 13
	s_waitcnt vmcnt(0)
	ds_write_b128 v3, v[4:7] offset:1360
.LBB0_11:
	s_or_b64 exec, exec, s[6:7]
.LBB0_12:
	s_or_b64 exec, exec, s[4:5]
	v_lshl_add_u32 v14, v2, 4, 0
	v_lshlrev_b32_e32 v17, 4, v8
	v_add_u32_e32 v15, v14, v17
	s_waitcnt lgkmcnt(0)
	s_barrier
	v_sub_u32_e32 v18, v14, v17
	ds_read_b64 v[6:7], v15
	ds_read_b64 v[12:13], v18 offset:1568
	v_cmp_ne_u32_e64 s[0:1], 0, v8
                                        ; implicit-def: $vgpr4_vgpr5
	s_waitcnt lgkmcnt(0)
	v_add_f64 v[0:1], v[6:7], v[12:13]
	v_add_f64 v[2:3], v[6:7], -v[12:13]
	s_and_saveexec_b64 s[4:5], s[0:1]
	s_xor_b64 s[4:5], exec, s[4:5]
	s_cbranch_execz .LBB0_14
; %bb.13:
	v_mov_b32_e32 v9, 0
	v_lshlrev_b64 v[0:1], 4, v[8:9]
	v_mov_b32_e32 v2, s9
	v_add_co_u32_e64 v0, s[0:1], s8, v0
	v_addc_co_u32_e64 v1, s[0:1], v2, v1, s[0:1]
	global_load_dwordx4 v[2:5], v[0:1], off offset:1536
	ds_read_b64 v[0:1], v18 offset:1576
	ds_read_b64 v[19:20], v15 offset:8
	v_add_f64 v[21:22], v[6:7], v[12:13]
	v_add_f64 v[12:13], v[6:7], -v[12:13]
	s_waitcnt lgkmcnt(0)
	v_add_f64 v[23:24], v[0:1], v[19:20]
	v_add_f64 v[0:1], v[19:20], -v[0:1]
	s_waitcnt vmcnt(0)
	v_fma_f64 v[6:7], -v[12:13], v[4:5], v[21:22]
	v_fma_f64 v[19:20], v[23:24], v[4:5], -v[0:1]
	v_fma_f64 v[21:22], v[12:13], v[4:5], v[21:22]
	v_fma_f64 v[25:26], v[23:24], v[4:5], v[0:1]
	;; [unrolled: 1-line block ×4, first 2 shown]
	v_fma_f64 v[0:1], -v[23:24], v[2:3], v[21:22]
	v_fma_f64 v[2:3], v[12:13], v[2:3], v[25:26]
	ds_write_b128 v18, v[4:7] offset:1568
	v_mov_b32_e32 v4, v8
	v_mov_b32_e32 v5, v9
.LBB0_14:
	s_andn2_saveexec_b64 s[0:1], s[4:5]
	s_cbranch_execz .LBB0_16
; %bb.15:
	ds_read_b128 v[4:7], v14 offset:784
	s_waitcnt lgkmcnt(0)
	v_add_f64 v[19:20], v[4:5], v[4:5]
	v_mul_f64 v[21:22], v[6:7], -2.0
	v_mov_b32_e32 v4, 0
	v_mov_b32_e32 v5, 0
	ds_write_b128 v14, v[19:22] offset:784
.LBB0_16:
	s_or_b64 exec, exec, s[0:1]
	s_add_u32 s0, s8, 0x600
	v_lshlrev_b64 v[4:5], 4, v[4:5]
	s_addc_u32 s1, s9, 0
	v_mov_b32_e32 v6, s1
	v_add_co_u32_e64 v4, s[0:1], s0, v4
	v_addc_co_u32_e64 v5, s[0:1], v6, v5, s[0:1]
	global_load_dwordx4 v[19:22], v[4:5], off offset:224
	global_load_dwordx4 v[23:26], v[4:5], off offset:448
	ds_write_b128 v15, v[0:3]
	ds_read_b128 v[0:3], v15 offset:224
	ds_read_b128 v[27:30], v18 offset:1344
	v_cmp_gt_u32_e64 s[0:1], 7, v8
	s_waitcnt lgkmcnt(0)
	v_add_f64 v[6:7], v[0:1], v[27:28]
	v_add_f64 v[12:13], v[29:30], v[2:3]
	v_add_f64 v[31:32], v[0:1], -v[27:28]
	v_add_f64 v[0:1], v[2:3], -v[29:30]
	s_waitcnt vmcnt(1)
	v_fma_f64 v[2:3], v[31:32], v[21:22], v[6:7]
	v_fma_f64 v[27:28], v[12:13], v[21:22], v[0:1]
	v_fma_f64 v[6:7], -v[31:32], v[21:22], v[6:7]
	v_fma_f64 v[21:22], v[12:13], v[21:22], -v[0:1]
	v_fma_f64 v[0:1], -v[12:13], v[19:20], v[2:3]
	v_fma_f64 v[2:3], v[31:32], v[19:20], v[27:28]
	v_fma_f64 v[27:28], v[12:13], v[19:20], v[6:7]
	;; [unrolled: 1-line block ×3, first 2 shown]
	ds_write_b128 v15, v[0:3] offset:224
	ds_write_b128 v18, v[27:30] offset:1344
	ds_read_b128 v[0:3], v15 offset:448
	ds_read_b128 v[19:22], v18 offset:1120
	s_waitcnt lgkmcnt(0)
	v_add_f64 v[6:7], v[0:1], v[19:20]
	v_add_f64 v[12:13], v[21:22], v[2:3]
	v_add_f64 v[27:28], v[0:1], -v[19:20]
	v_add_f64 v[0:1], v[2:3], -v[21:22]
	s_waitcnt vmcnt(0)
	v_fma_f64 v[2:3], v[27:28], v[25:26], v[6:7]
	v_fma_f64 v[19:20], v[12:13], v[25:26], v[0:1]
	v_fma_f64 v[6:7], -v[27:28], v[25:26], v[6:7]
	v_fma_f64 v[21:22], v[12:13], v[25:26], -v[0:1]
	v_fma_f64 v[0:1], -v[12:13], v[23:24], v[2:3]
	v_fma_f64 v[2:3], v[27:28], v[23:24], v[19:20]
	v_fma_f64 v[19:20], v[12:13], v[23:24], v[6:7]
	v_fma_f64 v[21:22], v[27:28], v[23:24], v[21:22]
	ds_write_b128 v15, v[0:3] offset:448
	ds_write_b128 v18, v[19:22] offset:1120
	s_and_saveexec_b64 s[4:5], s[0:1]
	s_cbranch_execz .LBB0_18
; %bb.17:
	global_load_dwordx4 v[0:3], v[4:5], off offset:672
	ds_read_b128 v[4:7], v15 offset:672
	ds_read_b128 v[19:22], v18 offset:896
	s_waitcnt lgkmcnt(0)
	v_add_f64 v[12:13], v[4:5], v[19:20]
	v_add_f64 v[23:24], v[21:22], v[6:7]
	v_add_f64 v[25:26], v[4:5], -v[19:20]
	v_add_f64 v[4:5], v[6:7], -v[21:22]
	s_waitcnt vmcnt(0)
	v_fma_f64 v[6:7], v[25:26], v[2:3], v[12:13]
	v_fma_f64 v[19:20], v[23:24], v[2:3], v[4:5]
	v_fma_f64 v[12:13], -v[25:26], v[2:3], v[12:13]
	v_fma_f64 v[21:22], v[23:24], v[2:3], -v[4:5]
	v_fma_f64 v[2:3], -v[23:24], v[0:1], v[6:7]
	v_fma_f64 v[4:5], v[25:26], v[0:1], v[19:20]
	v_fma_f64 v[19:20], v[23:24], v[0:1], v[12:13]
	;; [unrolled: 1-line block ×3, first 2 shown]
	ds_write_b128 v15, v[2:5] offset:672
	ds_write_b128 v18, v[19:22] offset:896
.LBB0_18:
	s_or_b64 exec, exec, s[4:5]
	v_add3_u32 v9, 0, v17, v16
	s_waitcnt lgkmcnt(0)
	s_barrier
	s_barrier
	ds_read_b128 v[0:3], v9 offset:784
	ds_read_b128 v[18:21], v15
	ds_read_b128 v[22:25], v9 offset:224
	ds_read_b128 v[26:29], v9 offset:1008
	v_add_u32_e32 v12, v9, v17
	s_waitcnt lgkmcnt(2)
	v_add_f64 v[30:31], v[18:19], -v[0:1]
	v_add_f64 v[32:33], v[20:21], -v[2:3]
	ds_read_b128 v[34:37], v9 offset:1232
	ds_read_b128 v[38:41], v9 offset:448
	;; [unrolled: 1-line block ×4, first 2 shown]
	s_waitcnt lgkmcnt(4)
	v_add_f64 v[26:27], v[22:23], -v[26:27]
	v_add_f64 v[28:29], v[24:25], -v[28:29]
	s_waitcnt lgkmcnt(2)
	v_add_f64 v[34:35], v[38:39], -v[34:35]
	v_add_f64 v[36:37], v[40:41], -v[36:37]
	s_waitcnt lgkmcnt(0)
	v_fma_f64 v[18:19], v[18:19], 2.0, -v[30:31]
	v_fma_f64 v[20:21], v[20:21], 2.0, -v[32:33]
	s_barrier
	v_fma_f64 v[22:23], v[22:23], 2.0, -v[26:27]
	v_fma_f64 v[24:25], v[24:25], 2.0, -v[28:29]
	;; [unrolled: 1-line block ×4, first 2 shown]
	ds_write_b128 v12, v[18:21]
	ds_write_b128 v12, v[30:33] offset:16
	v_lshlrev_b32_e32 v12, 5, v8
	v_add3_u32 v12, v12, 0, v16
	ds_write_b128 v12, v[22:25] offset:448
	ds_write_b128 v12, v[26:29] offset:464
	;; [unrolled: 1-line block ×4, first 2 shown]
	s_and_saveexec_b64 s[4:5], s[0:1]
	s_cbranch_execz .LBB0_20
; %bb.19:
	v_add_f64 v[6:7], v[2:3], -v[6:7]
	v_add_f64 v[4:5], v[0:1], -v[4:5]
	v_fma_f64 v[2:3], v[2:3], 2.0, -v[6:7]
	v_fma_f64 v[0:1], v[0:1], 2.0, -v[4:5]
	ds_write_b128 v12, v[0:3] offset:1344
	ds_write_b128 v12, v[4:7] offset:1360
.LBB0_20:
	s_or_b64 exec, exec, s[4:5]
	v_and_b32_e32 v45, 1, v8
	v_mul_u32_u24_e32 v0, 6, v45
	v_lshlrev_b32_e32 v41, 4, v0
	s_waitcnt lgkmcnt(0)
	s_barrier
	global_load_dwordx4 v[0:3], v41, s[8:9]
	global_load_dwordx4 v[4:7], v41, s[8:9] offset:16
	global_load_dwordx4 v[17:20], v41, s[8:9] offset:32
	;; [unrolled: 1-line block ×3, first 2 shown]
	ds_read_b128 v[25:28], v9 offset:224
	ds_read_b128 v[29:32], v15
	global_load_dwordx4 v[33:36], v41, s[8:9] offset:80
	ds_read_b128 v[37:40], v9 offset:448
	s_mov_b32 s4, 0x37e14327
	s_mov_b32 s0, 0x36b3c0b5
	;; [unrolled: 1-line block ×20, first 2 shown]
	s_waitcnt vmcnt(4) lgkmcnt(2)
	v_mul_f64 v[12:13], v[27:28], v[2:3]
	v_mul_f64 v[2:3], v[25:26], v[2:3]
	v_fma_f64 v[12:13], v[25:26], v[0:1], v[12:13]
	v_fma_f64 v[25:26], v[27:28], v[0:1], -v[2:3]
	ds_read_b128 v[0:3], v9 offset:672
	s_waitcnt vmcnt(3) lgkmcnt(1)
	v_mul_f64 v[27:28], v[39:40], v[6:7]
	v_mul_f64 v[6:7], v[37:38], v[6:7]
	v_fma_f64 v[27:28], v[37:38], v[4:5], v[27:28]
	v_fma_f64 v[37:38], v[39:40], v[4:5], -v[6:7]
	global_load_dwordx4 v[4:7], v41, s[8:9] offset:48
	s_waitcnt vmcnt(3) lgkmcnt(0)
	v_mul_f64 v[39:40], v[2:3], v[19:20]
	v_mul_f64 v[19:20], v[0:1], v[19:20]
	v_fma_f64 v[39:40], v[0:1], v[17:18], v[39:40]
	v_fma_f64 v[41:42], v[2:3], v[17:18], -v[19:20]
	ds_read_b128 v[0:3], v9 offset:1120
	ds_read_b128 v[17:20], v9 offset:896
	s_waitcnt vmcnt(2) lgkmcnt(1)
	v_mul_f64 v[43:44], v[2:3], v[23:24]
	v_fma_f64 v[43:44], v[0:1], v[21:22], v[43:44]
	v_mul_f64 v[0:1], v[0:1], v[23:24]
	v_fma_f64 v[21:22], v[2:3], v[21:22], -v[0:1]
	ds_read_b128 v[0:3], v9 offset:1344
	s_waitcnt vmcnt(0) lgkmcnt(0)
	s_barrier
	v_mul_f64 v[23:24], v[2:3], v[35:36]
	v_fma_f64 v[23:24], v[0:1], v[33:34], v[23:24]
	v_mul_f64 v[0:1], v[0:1], v[35:36]
	v_fma_f64 v[0:1], v[2:3], v[33:34], -v[0:1]
	v_lshrrev_b32_e32 v33, 1, v8
	v_mul_u32_u24_e32 v35, 14, v33
	v_add_f64 v[33:34], v[37:38], v[21:22]
	v_or_b32_e32 v47, v35, v45
	v_add_f64 v[21:22], v[37:38], -v[21:22]
	v_lshlrev_b32_e32 v49, 4, v47
	v_mul_f64 v[2:3], v[19:20], v[6:7]
	v_mul_f64 v[6:7], v[17:18], v[6:7]
	v_fma_f64 v[2:3], v[17:18], v[4:5], v[2:3]
	v_fma_f64 v[4:5], v[19:20], v[4:5], -v[6:7]
	v_add_f64 v[6:7], v[12:13], v[23:24]
	v_add_f64 v[19:20], v[27:28], v[43:44]
	;; [unrolled: 1-line block ×3, first 2 shown]
	v_add_f64 v[12:13], v[12:13], -v[23:24]
	v_add_f64 v[23:24], v[25:26], -v[0:1]
	;; [unrolled: 1-line block ×3, first 2 shown]
	v_add_f64 v[0:1], v[39:40], v[2:3]
	v_add_f64 v[27:28], v[41:42], v[4:5]
	v_add_f64 v[4:5], v[4:5], -v[41:42]
	v_add_f64 v[35:36], v[19:20], v[6:7]
	v_add_f64 v[43:44], v[33:34], v[17:18]
	v_add_f64 v[37:38], v[2:3], -v[39:40]
	v_add_f64 v[39:40], v[19:20], -v[6:7]
	;; [unrolled: 1-line block ×4, first 2 shown]
	v_add_f64 v[35:36], v[0:1], v[35:36]
	v_add_f64 v[41:42], v[27:28], v[43:44]
	v_add_f64 v[43:44], v[33:34], -v[17:18]
	v_add_f64 v[17:18], v[17:18], -v[27:28]
	v_add_f64 v[45:46], v[37:38], v[25:26]
	v_add_f64 v[27:28], v[27:28], -v[33:34]
	v_add_f64 v[33:34], v[12:13], -v[37:38]
	v_mul_f64 v[6:7], v[6:7], s[4:5]
	v_add_f64 v[0:1], v[29:30], v[35:36]
	v_add_f64 v[29:30], v[4:5], v[21:22]
	;; [unrolled: 1-line block ×3, first 2 shown]
	v_add_f64 v[31:32], v[37:38], -v[25:26]
	v_add_f64 v[37:38], v[4:5], -v[21:22]
	;; [unrolled: 1-line block ×5, first 2 shown]
	v_mul_f64 v[17:18], v[17:18], s[4:5]
	v_add_f64 v[23:24], v[29:30], v[23:24]
	v_mul_f64 v[29:30], v[19:20], s[0:1]
	v_fma_f64 v[19:20], v[19:20], s[0:1], v[6:7]
	v_fma_f64 v[6:7], v[39:40], s[18:19], -v[6:7]
	v_mul_f64 v[31:32], v[31:32], s[6:7]
	v_mul_f64 v[37:38], v[37:38], s[6:7]
	v_add_f64 v[12:13], v[45:46], v[12:13]
	v_fma_f64 v[35:36], v[35:36], s[14:15], v[0:1]
	v_fma_f64 v[41:42], v[41:42], s[14:15], v[2:3]
	v_fma_f64 v[29:30], v[39:40], s[16:17], -v[29:30]
	v_mul_f64 v[39:40], v[27:28], s[0:1]
	v_fma_f64 v[27:28], v[27:28], s[0:1], v[17:18]
	v_fma_f64 v[17:18], v[43:44], s[18:19], -v[17:18]
	v_add_f64 v[45:46], v[19:20], v[35:36]
	v_fma_f64 v[39:40], v[43:44], s[16:17], -v[39:40]
	v_mul_f64 v[43:44], v[25:26], s[10:11]
	v_fma_f64 v[25:26], v[25:26], s[10:11], -v[31:32]
	v_fma_f64 v[31:32], v[33:34], s[22:23], v[31:32]
	v_add_f64 v[47:48], v[27:28], v[41:42]
	v_add_f64 v[27:28], v[29:30], v[35:36]
	;; [unrolled: 1-line block ×3, first 2 shown]
	v_fma_f64 v[33:34], v[33:34], s[20:21], -v[43:44]
	v_mul_f64 v[43:44], v[21:22], s[10:11]
	v_fma_f64 v[21:22], v[21:22], s[10:11], -v[37:38]
	v_fma_f64 v[37:38], v[4:5], s[22:23], v[37:38]
	v_fma_f64 v[25:26], v[12:13], s[12:13], v[25:26]
	v_fma_f64 v[4:5], v[4:5], s[20:21], -v[43:44]
	v_fma_f64 v[43:44], v[12:13], s[12:13], v[31:32]
	v_fma_f64 v[37:38], v[23:24], s[12:13], v[37:38]
	;; [unrolled: 1-line block ×4, first 2 shown]
	v_add_f64 v[33:34], v[6:7], v[35:36]
	v_add_f64 v[35:36], v[17:18], v[41:42]
	;; [unrolled: 1-line block ×3, first 2 shown]
	v_fma_f64 v[31:32], v[23:24], s[12:13], v[4:5]
	v_add_f64 v[6:7], v[47:48], -v[43:44]
	v_add_f64 v[4:5], v[37:38], v[45:46]
	v_add_f64 v[17:18], v[27:28], -v[21:22]
	v_add_f64 v[21:22], v[21:22], v[27:28]
	v_add_f64 v[23:24], v[29:30], -v[25:26]
	v_add_f64 v[27:28], v[35:36], -v[12:13]
	v_add_f64 v[25:26], v[31:32], v[33:34]
	v_add_f64 v[29:30], v[33:34], -v[31:32]
	v_add_f64 v[31:32], v[12:13], v[35:36]
	v_add_f64 v[33:34], v[45:46], -v[37:38]
	v_add_f64 v[35:36], v[43:44], v[47:48]
	v_add3_u32 v12, 0, v49, v16
	ds_write_b128 v12, v[0:3]
	ds_write_b128 v12, v[4:7] offset:32
	ds_write_b128 v12, v[25:28] offset:64
	;; [unrolled: 1-line block ×6, first 2 shown]
	v_mul_u32_u24_e32 v0, 6, v8
	v_lshlrev_b32_e32 v44, 4, v0
	s_waitcnt lgkmcnt(0)
	s_barrier
	global_load_dwordx4 v[0:3], v44, s[8:9] offset:192
	global_load_dwordx4 v[4:7], v44, s[8:9] offset:208
	;; [unrolled: 1-line block ×4, first 2 shown]
	ds_read_b128 v[24:27], v9 offset:224
	ds_read_b128 v[28:31], v15
	ds_read_b128 v[32:35], v9 offset:448
	ds_read_b128 v[36:39], v9 offset:672
	s_waitcnt vmcnt(3) lgkmcnt(3)
	v_mul_f64 v[12:13], v[26:27], v[2:3]
	v_mul_f64 v[2:3], v[24:25], v[2:3]
	s_waitcnt vmcnt(2) lgkmcnt(1)
	v_mul_f64 v[40:41], v[34:35], v[6:7]
	v_mul_f64 v[6:7], v[32:33], v[6:7]
	v_fma_f64 v[12:13], v[24:25], v[0:1], v[12:13]
	v_fma_f64 v[42:43], v[26:27], v[0:1], -v[2:3]
	ds_read_b128 v[0:3], v9 offset:1120
	ds_read_b128 v[24:27], v9 offset:896
	v_fma_f64 v[32:33], v[32:33], v[4:5], v[40:41]
	v_fma_f64 v[34:35], v[34:35], v[4:5], -v[6:7]
	ds_read_b128 v[4:7], v9 offset:1344
	s_waitcnt vmcnt(1) lgkmcnt(2)
	v_mul_f64 v[40:41], v[2:3], v[18:19]
	v_mul_f64 v[18:19], v[0:1], v[18:19]
	v_fma_f64 v[40:41], v[0:1], v[16:17], v[40:41]
	v_fma_f64 v[15:16], v[2:3], v[16:17], -v[18:19]
	s_waitcnt vmcnt(0) lgkmcnt(0)
	v_mul_f64 v[17:18], v[6:7], v[22:23]
	global_load_dwordx4 v[0:3], v44, s[8:9] offset:224
	v_mul_f64 v[22:23], v[4:5], v[22:23]
	v_fma_f64 v[17:18], v[4:5], v[20:21], v[17:18]
	v_fma_f64 v[19:20], v[6:7], v[20:21], -v[22:23]
	global_load_dwordx4 v[4:7], v44, s[8:9] offset:240
	s_waitcnt vmcnt(0)
	s_barrier
	v_mul_f64 v[21:22], v[38:39], v[2:3]
	v_mul_f64 v[2:3], v[36:37], v[2:3]
	v_fma_f64 v[21:22], v[36:37], v[0:1], v[21:22]
	v_fma_f64 v[0:1], v[38:39], v[0:1], -v[2:3]
	v_mul_f64 v[2:3], v[26:27], v[6:7]
	v_mul_f64 v[6:7], v[24:25], v[6:7]
	v_add_f64 v[36:37], v[34:35], v[15:16]
	v_add_f64 v[15:16], v[34:35], -v[15:16]
	v_fma_f64 v[2:3], v[24:25], v[4:5], v[2:3]
	v_fma_f64 v[4:5], v[26:27], v[4:5], -v[6:7]
	v_add_f64 v[6:7], v[12:13], v[17:18]
	v_add_f64 v[23:24], v[42:43], v[19:20]
	;; [unrolled: 1-line block ×3, first 2 shown]
	v_add_f64 v[12:13], v[12:13], -v[17:18]
	v_add_f64 v[17:18], v[42:43], -v[19:20]
	;; [unrolled: 1-line block ×3, first 2 shown]
	v_add_f64 v[19:20], v[21:22], v[2:3]
	v_add_f64 v[38:39], v[0:1], v[4:5]
	v_add_f64 v[21:22], v[2:3], -v[21:22]
	v_add_f64 v[44:45], v[36:37], v[23:24]
	v_add_f64 v[42:43], v[25:26], v[6:7]
	v_add_f64 v[4:5], v[4:5], -v[0:1]
	v_add_f64 v[34:35], v[25:26], -v[6:7]
	;; [unrolled: 1-line block ×5, first 2 shown]
	v_add_f64 v[44:45], v[38:39], v[44:45]
	v_add_f64 v[42:43], v[19:20], v[42:43]
	v_add_f64 v[19:20], v[19:20], -v[25:26]
	v_add_f64 v[25:26], v[38:39], -v[36:37]
	v_add_f64 v[36:37], v[21:22], v[32:33]
	v_add_f64 v[38:39], v[4:5], v[15:16]
	v_mul_f64 v[6:7], v[6:7], s[4:5]
	v_mul_f64 v[23:24], v[23:24], s[4:5]
	v_add_f64 v[2:3], v[30:31], v[44:45]
	v_add_f64 v[0:1], v[28:29], v[42:43]
	v_add_f64 v[27:28], v[21:22], -v[32:33]
	v_add_f64 v[29:30], v[4:5], -v[15:16]
	;; [unrolled: 1-line block ×5, first 2 shown]
	v_add_f64 v[12:13], v[36:37], v[12:13]
	v_mul_f64 v[36:37], v[19:20], s[0:1]
	v_add_f64 v[15:16], v[15:16], -v[17:18]
	v_add_f64 v[17:18], v[38:39], v[17:18]
	v_mul_f64 v[38:39], v[25:26], s[0:1]
	v_mul_f64 v[27:28], v[27:28], s[6:7]
	;; [unrolled: 1-line block ×3, first 2 shown]
	v_fma_f64 v[19:20], v[19:20], s[0:1], v[6:7]
	v_fma_f64 v[6:7], v[34:35], s[18:19], -v[6:7]
	v_fma_f64 v[36:37], v[34:35], s[16:17], -v[36:37]
	v_mul_f64 v[33:34], v[31:32], s[10:11]
	v_fma_f64 v[25:26], v[25:26], s[0:1], v[23:24]
	v_fma_f64 v[38:39], v[40:41], s[16:17], -v[38:39]
	v_fma_f64 v[23:24], v[40:41], s[18:19], -v[23:24]
	v_mul_f64 v[40:41], v[15:16], s[10:11]
	v_fma_f64 v[31:32], v[31:32], s[10:11], -v[27:28]
	v_fma_f64 v[27:28], v[21:22], s[22:23], v[27:28]
	v_fma_f64 v[15:16], v[15:16], s[10:11], -v[29:30]
	v_fma_f64 v[29:30], v[4:5], s[22:23], v[29:30]
	v_fma_f64 v[21:22], v[21:22], s[20:21], -v[33:34]
	v_fma_f64 v[33:34], v[42:43], s[14:15], v[0:1]
	v_fma_f64 v[4:5], v[4:5], s[20:21], -v[40:41]
	v_fma_f64 v[40:41], v[44:45], s[14:15], v[2:3]
	v_fma_f64 v[42:43], v[12:13], s[12:13], v[27:28]
	v_fma_f64 v[27:28], v[12:13], s[12:13], v[31:32]
	;; [unrolled: 1-line block ×4, first 2 shown]
	v_add_f64 v[46:47], v[19:20], v[33:34]
	v_add_f64 v[50:51], v[6:7], v[33:34]
	v_fma_f64 v[31:32], v[17:18], s[12:13], v[4:5]
	v_add_f64 v[48:49], v[25:26], v[40:41]
	v_add_f64 v[52:53], v[23:24], v[40:41]
	v_fma_f64 v[29:30], v[17:18], s[12:13], v[15:16]
	v_add_f64 v[23:24], v[36:37], v[33:34]
	v_add_f64 v[25:26], v[38:39], v[40:41]
	;; [unrolled: 1-line block ×4, first 2 shown]
	v_add_f64 v[6:7], v[48:49], -v[42:43]
	v_add_f64 v[17:18], v[52:53], -v[12:13]
	v_add_f64 v[33:34], v[42:43], v[48:49]
	v_add_f64 v[19:20], v[23:24], -v[29:30]
	v_add_f64 v[21:22], v[27:28], v[25:26]
	v_add_f64 v[23:24], v[29:30], v[23:24]
	v_add_f64 v[25:26], v[25:26], -v[27:28]
	v_add_f64 v[27:28], v[50:51], -v[31:32]
	v_add_f64 v[29:30], v[12:13], v[52:53]
	v_add_f64 v[31:32], v[46:47], -v[44:45]
	ds_write_b128 v9, v[0:3]
	ds_write_b128 v9, v[4:7] offset:224
	ds_write_b128 v9, v[15:18] offset:448
	;; [unrolled: 1-line block ×6, first 2 shown]
	s_waitcnt lgkmcnt(0)
	s_barrier
	s_and_saveexec_b64 s[0:1], vcc
	s_cbranch_execz .LBB0_22
; %bb.21:
	v_lshl_add_u32 v12, v8, 4, v14
	v_mov_b32_e32 v9, 0
	ds_read_b128 v[0:3], v12
	v_mov_b32_e32 v4, s3
	v_add_co_u32_e32 v13, vcc, s2, v10
	v_addc_co_u32_e32 v14, vcc, v4, v11, vcc
	v_lshlrev_b64 v[4:5], 4, v[8:9]
	v_add_co_u32_e32 v10, vcc, v13, v4
	v_addc_co_u32_e32 v11, vcc, v14, v5, vcc
	ds_read_b128 v[4:7], v12 offset:224
	s_waitcnt lgkmcnt(1)
	global_store_dwordx4 v[10:11], v[0:3], off
	s_nop 0
	v_add_u32_e32 v0, 14, v8
	v_mov_b32_e32 v1, v9
	v_lshlrev_b64 v[0:1], 4, v[0:1]
	v_add_co_u32_e32 v0, vcc, v13, v0
	v_addc_co_u32_e32 v1, vcc, v14, v1, vcc
	s_waitcnt lgkmcnt(0)
	global_store_dwordx4 v[0:1], v[4:7], off
	ds_read_b128 v[0:3], v12 offset:448
	v_add_u32_e32 v4, 28, v8
	v_mov_b32_e32 v5, v9
	v_lshlrev_b64 v[4:5], 4, v[4:5]
	v_add_co_u32_e32 v10, vcc, v13, v4
	v_addc_co_u32_e32 v11, vcc, v14, v5, vcc
	ds_read_b128 v[4:7], v12 offset:672
	s_waitcnt lgkmcnt(1)
	global_store_dwordx4 v[10:11], v[0:3], off
	s_nop 0
	v_add_u32_e32 v0, 42, v8
	v_mov_b32_e32 v1, v9
	v_lshlrev_b64 v[0:1], 4, v[0:1]
	v_add_co_u32_e32 v0, vcc, v13, v0
	v_addc_co_u32_e32 v1, vcc, v14, v1, vcc
	s_waitcnt lgkmcnt(0)
	global_store_dwordx4 v[0:1], v[4:7], off
	ds_read_b128 v[0:3], v12 offset:896
	v_add_u32_e32 v4, 56, v8
	v_mov_b32_e32 v5, v9
	v_lshlrev_b64 v[4:5], 4, v[4:5]
	v_add_co_u32_e32 v10, vcc, v13, v4
	v_addc_co_u32_e32 v11, vcc, v14, v5, vcc
	ds_read_b128 v[4:7], v12 offset:1120
	s_waitcnt lgkmcnt(1)
	global_store_dwordx4 v[10:11], v[0:3], off
	s_nop 0
	v_add_u32_e32 v0, 0x46, v8
	v_mov_b32_e32 v1, v9
	v_lshlrev_b64 v[0:1], 4, v[0:1]
	v_add_u32_e32 v8, 0x54, v8
	v_add_co_u32_e32 v0, vcc, v13, v0
	v_addc_co_u32_e32 v1, vcc, v14, v1, vcc
	s_waitcnt lgkmcnt(0)
	global_store_dwordx4 v[0:1], v[4:7], off
	ds_read_b128 v[0:3], v12 offset:1344
	v_lshlrev_b64 v[4:5], 4, v[8:9]
	v_add_co_u32_e32 v4, vcc, v13, v4
	v_addc_co_u32_e32 v5, vcc, v14, v5, vcc
	s_waitcnt lgkmcnt(0)
	global_store_dwordx4 v[4:5], v[0:3], off
.LBB0_22:
	s_endpgm
	.section	.rodata,"a",@progbits
	.p2align	6, 0x0
	.amdhsa_kernel fft_rtc_back_len98_factors_2_7_7_wgs_252_tpt_14_dp_ip_CI_unitstride_sbrr_C2R_dirReg
		.amdhsa_group_segment_fixed_size 0
		.amdhsa_private_segment_fixed_size 0
		.amdhsa_kernarg_size 88
		.amdhsa_user_sgpr_count 6
		.amdhsa_user_sgpr_private_segment_buffer 1
		.amdhsa_user_sgpr_dispatch_ptr 0
		.amdhsa_user_sgpr_queue_ptr 0
		.amdhsa_user_sgpr_kernarg_segment_ptr 1
		.amdhsa_user_sgpr_dispatch_id 0
		.amdhsa_user_sgpr_flat_scratch_init 0
		.amdhsa_user_sgpr_private_segment_size 0
		.amdhsa_uses_dynamic_stack 0
		.amdhsa_system_sgpr_private_segment_wavefront_offset 0
		.amdhsa_system_sgpr_workgroup_id_x 1
		.amdhsa_system_sgpr_workgroup_id_y 0
		.amdhsa_system_sgpr_workgroup_id_z 0
		.amdhsa_system_sgpr_workgroup_info 0
		.amdhsa_system_vgpr_workitem_id 0
		.amdhsa_next_free_vgpr 54
		.amdhsa_next_free_sgpr 24
		.amdhsa_reserve_vcc 1
		.amdhsa_reserve_flat_scratch 0
		.amdhsa_float_round_mode_32 0
		.amdhsa_float_round_mode_16_64 0
		.amdhsa_float_denorm_mode_32 3
		.amdhsa_float_denorm_mode_16_64 3
		.amdhsa_dx10_clamp 1
		.amdhsa_ieee_mode 1
		.amdhsa_fp16_overflow 0
		.amdhsa_exception_fp_ieee_invalid_op 0
		.amdhsa_exception_fp_denorm_src 0
		.amdhsa_exception_fp_ieee_div_zero 0
		.amdhsa_exception_fp_ieee_overflow 0
		.amdhsa_exception_fp_ieee_underflow 0
		.amdhsa_exception_fp_ieee_inexact 0
		.amdhsa_exception_int_div_zero 0
	.end_amdhsa_kernel
	.text
.Lfunc_end0:
	.size	fft_rtc_back_len98_factors_2_7_7_wgs_252_tpt_14_dp_ip_CI_unitstride_sbrr_C2R_dirReg, .Lfunc_end0-fft_rtc_back_len98_factors_2_7_7_wgs_252_tpt_14_dp_ip_CI_unitstride_sbrr_C2R_dirReg
                                        ; -- End function
	.section	.AMDGPU.csdata,"",@progbits
; Kernel info:
; codeLenInByte = 5172
; NumSgprs: 28
; NumVgprs: 54
; ScratchSize: 0
; MemoryBound: 0
; FloatMode: 240
; IeeeMode: 1
; LDSByteSize: 0 bytes/workgroup (compile time only)
; SGPRBlocks: 3
; VGPRBlocks: 13
; NumSGPRsForWavesPerEU: 28
; NumVGPRsForWavesPerEU: 54
; Occupancy: 4
; WaveLimiterHint : 1
; COMPUTE_PGM_RSRC2:SCRATCH_EN: 0
; COMPUTE_PGM_RSRC2:USER_SGPR: 6
; COMPUTE_PGM_RSRC2:TRAP_HANDLER: 0
; COMPUTE_PGM_RSRC2:TGID_X_EN: 1
; COMPUTE_PGM_RSRC2:TGID_Y_EN: 0
; COMPUTE_PGM_RSRC2:TGID_Z_EN: 0
; COMPUTE_PGM_RSRC2:TIDIG_COMP_CNT: 0
	.type	__hip_cuid_926ac9783e544a68,@object ; @__hip_cuid_926ac9783e544a68
	.section	.bss,"aw",@nobits
	.globl	__hip_cuid_926ac9783e544a68
__hip_cuid_926ac9783e544a68:
	.byte	0                               ; 0x0
	.size	__hip_cuid_926ac9783e544a68, 1

	.ident	"AMD clang version 19.0.0git (https://github.com/RadeonOpenCompute/llvm-project roc-6.4.0 25133 c7fe45cf4b819c5991fe208aaa96edf142730f1d)"
	.section	".note.GNU-stack","",@progbits
	.addrsig
	.addrsig_sym __hip_cuid_926ac9783e544a68
	.amdgpu_metadata
---
amdhsa.kernels:
  - .args:
      - .actual_access:  read_only
        .address_space:  global
        .offset:         0
        .size:           8
        .value_kind:     global_buffer
      - .offset:         8
        .size:           8
        .value_kind:     by_value
      - .actual_access:  read_only
        .address_space:  global
        .offset:         16
        .size:           8
        .value_kind:     global_buffer
      - .actual_access:  read_only
        .address_space:  global
        .offset:         24
        .size:           8
        .value_kind:     global_buffer
      - .offset:         32
        .size:           8
        .value_kind:     by_value
      - .actual_access:  read_only
        .address_space:  global
        .offset:         40
        .size:           8
        .value_kind:     global_buffer
      - .actual_access:  read_only
        .address_space:  global
        .offset:         48
        .size:           8
        .value_kind:     global_buffer
      - .offset:         56
        .size:           4
        .value_kind:     by_value
      - .actual_access:  read_only
        .address_space:  global
        .offset:         64
        .size:           8
        .value_kind:     global_buffer
      - .actual_access:  read_only
        .address_space:  global
        .offset:         72
        .size:           8
        .value_kind:     global_buffer
      - .address_space:  global
        .offset:         80
        .size:           8
        .value_kind:     global_buffer
    .group_segment_fixed_size: 0
    .kernarg_segment_align: 8
    .kernarg_segment_size: 88
    .language:       OpenCL C
    .language_version:
      - 2
      - 0
    .max_flat_workgroup_size: 252
    .name:           fft_rtc_back_len98_factors_2_7_7_wgs_252_tpt_14_dp_ip_CI_unitstride_sbrr_C2R_dirReg
    .private_segment_fixed_size: 0
    .sgpr_count:     28
    .sgpr_spill_count: 0
    .symbol:         fft_rtc_back_len98_factors_2_7_7_wgs_252_tpt_14_dp_ip_CI_unitstride_sbrr_C2R_dirReg.kd
    .uniform_work_group_size: 1
    .uses_dynamic_stack: false
    .vgpr_count:     54
    .vgpr_spill_count: 0
    .wavefront_size: 64
amdhsa.target:   amdgcn-amd-amdhsa--gfx906
amdhsa.version:
  - 1
  - 2
...

	.end_amdgpu_metadata
